;; amdgpu-corpus repo=ROCm/rocFFT kind=compiled arch=gfx950 opt=O3
	.text
	.amdgcn_target "amdgcn-amd-amdhsa--gfx950"
	.amdhsa_code_object_version 6
	.protected	fft_rtc_back_len1320_factors_11_2_3_5_4_wgs_165_tpt_165_dp_op_CI_CI_sbrr_dirReg ; -- Begin function fft_rtc_back_len1320_factors_11_2_3_5_4_wgs_165_tpt_165_dp_op_CI_CI_sbrr_dirReg
	.globl	fft_rtc_back_len1320_factors_11_2_3_5_4_wgs_165_tpt_165_dp_op_CI_CI_sbrr_dirReg
	.p2align	8
	.type	fft_rtc_back_len1320_factors_11_2_3_5_4_wgs_165_tpt_165_dp_op_CI_CI_sbrr_dirReg,@function
fft_rtc_back_len1320_factors_11_2_3_5_4_wgs_165_tpt_165_dp_op_CI_CI_sbrr_dirReg: ; @fft_rtc_back_len1320_factors_11_2_3_5_4_wgs_165_tpt_165_dp_op_CI_CI_sbrr_dirReg
; %bb.0:
	s_load_dwordx4 s[12:15], s[0:1], 0x18
	s_load_dwordx4 s[8:11], s[0:1], 0x0
	;; [unrolled: 1-line block ×3, first 2 shown]
	v_mul_u32_u24_e32 v1, 0x18e, v0
	v_add_u32_sdwa v6, s2, v1 dst_sel:DWORD dst_unused:UNUSED_PAD src0_sel:DWORD src1_sel:WORD_1
	s_waitcnt lgkmcnt(0)
	s_load_dwordx2 s[18:19], s[12:13], 0x0
	s_load_dwordx2 s[16:17], s[14:15], 0x0
	v_mov_b32_e32 v4, 0
	v_cmp_lt_u64_e64 s[2:3], s[10:11], 2
	v_mov_b32_e32 v7, v4
	s_and_b64 vcc, exec, s[2:3]
	v_mov_b64_e32 v[2:3], 0
	s_cbranch_vccnz .LBB0_8
; %bb.1:
	s_load_dwordx2 s[2:3], s[0:1], 0x10
	s_add_u32 s20, s14, 8
	s_addc_u32 s21, s15, 0
	s_add_u32 s22, s12, 8
	s_addc_u32 s23, s13, 0
	s_waitcnt lgkmcnt(0)
	s_add_u32 s24, s2, 8
	v_mov_b64_e32 v[2:3], 0
	s_addc_u32 s25, s3, 0
	s_mov_b64 s[26:27], 1
	v_mov_b64_e32 v[60:61], v[2:3]
.LBB0_2:                                ; =>This Inner Loop Header: Depth=1
	s_load_dwordx2 s[28:29], s[24:25], 0x0
                                        ; implicit-def: $vgpr62_vgpr63
	s_waitcnt lgkmcnt(0)
	v_or_b32_e32 v5, s29, v7
	v_cmp_ne_u64_e32 vcc, 0, v[4:5]
	s_and_saveexec_b64 s[2:3], vcc
	s_xor_b64 s[30:31], exec, s[2:3]
	s_cbranch_execz .LBB0_4
; %bb.3:                                ;   in Loop: Header=BB0_2 Depth=1
	v_cvt_f32_u32_e32 v1, s28
	v_cvt_f32_u32_e32 v5, s29
	s_sub_u32 s2, 0, s28
	s_subb_u32 s3, 0, s29
	v_fmac_f32_e32 v1, 0x4f800000, v5
	v_rcp_f32_e32 v1, v1
	s_nop 0
	v_mul_f32_e32 v1, 0x5f7ffffc, v1
	v_mul_f32_e32 v5, 0x2f800000, v1
	v_trunc_f32_e32 v5, v5
	v_fmac_f32_e32 v1, 0xcf800000, v5
	v_cvt_u32_f32_e32 v5, v5
	v_cvt_u32_f32_e32 v1, v1
	v_mul_lo_u32 v8, s2, v5
	v_mul_hi_u32 v10, s2, v1
	v_mul_lo_u32 v9, s3, v1
	v_add_u32_e32 v10, v10, v8
	v_mul_lo_u32 v12, s2, v1
	v_add_u32_e32 v13, v10, v9
	v_mul_hi_u32 v8, v1, v12
	v_mul_hi_u32 v11, v1, v13
	v_mul_lo_u32 v10, v1, v13
	v_mov_b32_e32 v9, v4
	v_lshl_add_u64 v[8:9], v[8:9], 0, v[10:11]
	v_mul_hi_u32 v11, v5, v12
	v_mul_lo_u32 v12, v5, v12
	v_add_co_u32_e32 v8, vcc, v8, v12
	v_mul_hi_u32 v10, v5, v13
	s_nop 0
	v_addc_co_u32_e32 v8, vcc, v9, v11, vcc
	v_mov_b32_e32 v9, v4
	s_nop 0
	v_addc_co_u32_e32 v11, vcc, 0, v10, vcc
	v_mul_lo_u32 v10, v5, v13
	v_lshl_add_u64 v[8:9], v[8:9], 0, v[10:11]
	v_add_co_u32_e32 v1, vcc, v1, v8
	v_mul_lo_u32 v10, s2, v1
	s_nop 0
	v_addc_co_u32_e32 v5, vcc, v5, v9, vcc
	v_mul_lo_u32 v8, s2, v5
	v_mul_hi_u32 v9, s2, v1
	v_add_u32_e32 v8, v9, v8
	v_mul_lo_u32 v9, s3, v1
	v_add_u32_e32 v12, v8, v9
	v_mul_hi_u32 v14, v5, v10
	v_mul_lo_u32 v15, v5, v10
	v_mul_hi_u32 v9, v1, v12
	v_mul_lo_u32 v8, v1, v12
	v_mul_hi_u32 v10, v1, v10
	v_mov_b32_e32 v11, v4
	v_lshl_add_u64 v[8:9], v[10:11], 0, v[8:9]
	v_add_co_u32_e32 v8, vcc, v8, v15
	v_mul_hi_u32 v13, v5, v12
	s_nop 0
	v_addc_co_u32_e32 v8, vcc, v9, v14, vcc
	v_mul_lo_u32 v10, v5, v12
	s_nop 0
	v_addc_co_u32_e32 v11, vcc, 0, v13, vcc
	v_mov_b32_e32 v9, v4
	v_lshl_add_u64 v[8:9], v[8:9], 0, v[10:11]
	v_add_co_u32_e32 v1, vcc, v1, v8
	v_mul_hi_u32 v10, v6, v1
	s_nop 0
	v_addc_co_u32_e32 v5, vcc, v5, v9, vcc
	v_mad_u64_u32 v[8:9], s[2:3], v6, v5, 0
	v_mov_b32_e32 v11, v4
	v_lshl_add_u64 v[8:9], v[10:11], 0, v[8:9]
	v_mad_u64_u32 v[12:13], s[2:3], v7, v1, 0
	v_add_co_u32_e32 v1, vcc, v8, v12
	v_mad_u64_u32 v[10:11], s[2:3], v7, v5, 0
	s_nop 0
	v_addc_co_u32_e32 v8, vcc, v9, v13, vcc
	v_mov_b32_e32 v9, v4
	s_nop 0
	v_addc_co_u32_e32 v11, vcc, 0, v11, vcc
	v_lshl_add_u64 v[8:9], v[8:9], 0, v[10:11]
	v_mul_lo_u32 v1, s29, v8
	v_mul_lo_u32 v5, s28, v9
	v_mad_u64_u32 v[10:11], s[2:3], s28, v8, 0
	v_add3_u32 v1, v11, v5, v1
	v_sub_u32_e32 v5, v7, v1
	v_mov_b32_e32 v11, s29
	v_sub_co_u32_e32 v14, vcc, v6, v10
	v_lshl_add_u64 v[12:13], v[8:9], 0, 1
	s_nop 0
	v_subb_co_u32_e64 v5, s[2:3], v5, v11, vcc
	v_subrev_co_u32_e64 v10, s[2:3], s28, v14
	v_subb_co_u32_e32 v1, vcc, v7, v1, vcc
	s_nop 0
	v_subbrev_co_u32_e64 v5, s[2:3], 0, v5, s[2:3]
	v_cmp_le_u32_e64 s[2:3], s29, v5
	v_cmp_le_u32_e32 vcc, s29, v1
	s_nop 0
	v_cndmask_b32_e64 v11, 0, -1, s[2:3]
	v_cmp_le_u32_e64 s[2:3], s28, v10
	s_nop 1
	v_cndmask_b32_e64 v10, 0, -1, s[2:3]
	v_cmp_eq_u32_e64 s[2:3], s29, v5
	s_nop 1
	v_cndmask_b32_e64 v5, v11, v10, s[2:3]
	v_lshl_add_u64 v[10:11], v[8:9], 0, 2
	v_cmp_ne_u32_e64 s[2:3], 0, v5
	s_nop 1
	v_cndmask_b32_e64 v5, v13, v11, s[2:3]
	v_cndmask_b32_e64 v11, 0, -1, vcc
	v_cmp_le_u32_e32 vcc, s28, v14
	s_nop 1
	v_cndmask_b32_e64 v13, 0, -1, vcc
	v_cmp_eq_u32_e32 vcc, s29, v1
	s_nop 1
	v_cndmask_b32_e32 v1, v11, v13, vcc
	v_cmp_ne_u32_e32 vcc, 0, v1
	v_cndmask_b32_e64 v1, v12, v10, s[2:3]
	s_nop 0
	v_cndmask_b32_e32 v63, v9, v5, vcc
	v_cndmask_b32_e32 v62, v8, v1, vcc
.LBB0_4:                                ;   in Loop: Header=BB0_2 Depth=1
	s_andn2_saveexec_b64 s[2:3], s[30:31]
	s_cbranch_execz .LBB0_6
; %bb.5:                                ;   in Loop: Header=BB0_2 Depth=1
	v_cvt_f32_u32_e32 v1, s28
	s_sub_i32 s30, 0, s28
	v_mov_b32_e32 v63, v4
	v_rcp_iflag_f32_e32 v1, v1
	s_nop 0
	v_mul_f32_e32 v1, 0x4f7ffffe, v1
	v_cvt_u32_f32_e32 v1, v1
	v_mul_lo_u32 v5, s30, v1
	v_mul_hi_u32 v5, v1, v5
	v_add_u32_e32 v1, v1, v5
	v_mul_hi_u32 v1, v6, v1
	v_mul_lo_u32 v5, v1, s28
	v_sub_u32_e32 v5, v6, v5
	v_add_u32_e32 v8, 1, v1
	v_subrev_u32_e32 v9, s28, v5
	v_cmp_le_u32_e32 vcc, s28, v5
	s_nop 1
	v_cndmask_b32_e32 v5, v5, v9, vcc
	v_cndmask_b32_e32 v1, v1, v8, vcc
	v_add_u32_e32 v8, 1, v1
	v_cmp_le_u32_e32 vcc, s28, v5
	s_nop 1
	v_cndmask_b32_e32 v62, v1, v8, vcc
.LBB0_6:                                ;   in Loop: Header=BB0_2 Depth=1
	s_or_b64 exec, exec, s[2:3]
	v_mad_u64_u32 v[8:9], s[2:3], v62, s28, 0
	s_load_dwordx2 s[2:3], s[22:23], 0x0
	v_mul_lo_u32 v1, v63, s28
	v_mul_lo_u32 v5, v62, s29
	s_load_dwordx2 s[28:29], s[20:21], 0x0
	s_add_u32 s26, s26, 1
	v_add3_u32 v1, v9, v5, v1
	v_sub_co_u32_e32 v5, vcc, v6, v8
	s_addc_u32 s27, s27, 0
	s_nop 0
	v_subb_co_u32_e32 v1, vcc, v7, v1, vcc
	s_add_u32 s20, s20, 8
	s_waitcnt lgkmcnt(0)
	v_mul_lo_u32 v6, s2, v1
	v_mul_lo_u32 v7, s3, v5
	v_mad_u64_u32 v[2:3], s[2:3], s2, v5, v[2:3]
	s_addc_u32 s21, s21, 0
	v_add3_u32 v3, v7, v3, v6
	v_mul_lo_u32 v1, s28, v1
	v_mul_lo_u32 v6, s29, v5
	v_mad_u64_u32 v[60:61], s[2:3], s28, v5, v[60:61]
	s_add_u32 s22, s22, 8
	v_add3_u32 v61, v6, v61, v1
	s_addc_u32 s23, s23, 0
	v_mov_b64_e32 v[6:7], s[10:11]
	s_add_u32 s24, s24, 8
	v_cmp_ge_u64_e32 vcc, s[26:27], v[6:7]
	s_addc_u32 s25, s25, 0
	s_cbranch_vccnz .LBB0_9
; %bb.7:                                ;   in Loop: Header=BB0_2 Depth=1
	v_mov_b64_e32 v[6:7], v[62:63]
	s_branch .LBB0_2
.LBB0_8:
	v_mov_b64_e32 v[60:61], v[2:3]
	v_mov_b64_e32 v[62:63], v[6:7]
.LBB0_9:
	s_load_dwordx2 s[0:1], s[0:1], 0x28
	s_lshl_b64 s[20:21], s[10:11], 3
	s_mov_b32 s10, 0x18d3019
	v_mul_hi_u32 v1, v0, s10
	v_mul_u32_u24_e32 v1, 0xa5, v1
	s_waitcnt lgkmcnt(0)
	v_cmp_gt_u64_e32 vcc, s[0:1], v[62:63]
	v_sub_u32_e32 v144, v0, v1
	s_movk_i32 s0, 0x78
	s_add_u32 s2, s14, s20
	v_cmp_gt_u32_e64 s[0:1], s0, v144
	s_addc_u32 s3, s15, s21
	s_and_b64 s[14:15], vcc, s[0:1]
                                        ; implicit-def: $vgpr6_vgpr7
                                        ; implicit-def: $vgpr18_vgpr19
                                        ; implicit-def: $vgpr26_vgpr27
                                        ; implicit-def: $vgpr34_vgpr35
                                        ; implicit-def: $vgpr50_vgpr51
                                        ; implicit-def: $vgpr42_vgpr43
                                        ; implicit-def: $vgpr46_vgpr47
                                        ; implicit-def: $vgpr38_vgpr39
                                        ; implicit-def: $vgpr30_vgpr31
                                        ; implicit-def: $vgpr22_vgpr23
                                        ; implicit-def: $vgpr10_vgpr11
	s_and_saveexec_b64 s[10:11], s[14:15]
	s_cbranch_execz .LBB0_11
; %bb.10:
	s_add_u32 s12, s12, s20
	s_addc_u32 s13, s13, s21
	s_load_dwordx2 s[12:13], s[12:13], 0x0
	v_add_u32_e32 v15, 0x168, v144
	s_waitcnt lgkmcnt(0)
	v_mul_lo_u32 v4, s13, v62
	v_mul_lo_u32 v5, s12, v63
	v_mad_u64_u32 v[0:1], s[12:13], s12, v62, 0
	v_add3_u32 v1, v1, v5, v4
	v_mad_u64_u32 v[4:5], s[12:13], s18, v144, 0
	v_mov_b32_e32 v6, v5
	v_mad_u64_u32 v[6:7], s[12:13], s19, v144, v[6:7]
	v_lshl_add_u64 v[0:1], v[0:1], 4, s[4:5]
	v_mov_b32_e32 v5, v6
	v_lshl_add_u64 v[0:1], v[2:3], 4, v[0:1]
	v_add_u32_e32 v7, 0x78, v144
	v_lshl_add_u64 v[2:3], v[4:5], 4, v[0:1]
	v_mad_u64_u32 v[4:5], s[4:5], s18, v7, 0
	v_mov_b32_e32 v6, v5
	v_mad_u64_u32 v[6:7], s[4:5], s19, v7, v[6:7]
	v_mov_b32_e32 v5, v6
	v_lshl_add_u64 v[12:13], v[4:5], 4, v[0:1]
	global_load_dwordx4 v[8:11], v[2:3], off
	global_load_dwordx4 v[4:7], v[12:13], off
	v_add_u32_e32 v13, 0xf0, v144
	v_mad_u64_u32 v[2:3], s[4:5], s18, v13, 0
	v_mov_b32_e32 v12, v3
	v_mad_u64_u32 v[12:13], s[4:5], s19, v13, v[12:13]
	v_mov_b32_e32 v3, v12
	;; [unrolled: 2-line block ×4, first 2 shown]
	v_lshl_add_u64 v[2:3], v[2:3], 4, v[0:1]
	v_lshl_add_u64 v[12:13], v[12:13], 4, v[0:1]
	global_load_dwordx4 v[16:19], v[2:3], off
	global_load_dwordx4 v[20:23], v[12:13], off
	v_add_u32_e32 v13, 0x1e0, v144
	v_mad_u64_u32 v[2:3], s[4:5], s18, v13, 0
	v_mov_b32_e32 v12, v3
	v_mad_u64_u32 v[12:13], s[4:5], s19, v13, v[12:13]
	v_add_u32_e32 v15, 0x258, v144
	v_mov_b32_e32 v3, v12
	v_mad_u64_u32 v[12:13], s[4:5], s18, v15, 0
	v_mov_b32_e32 v14, v13
	v_mad_u64_u32 v[14:15], s[4:5], s19, v15, v[14:15]
	v_mov_b32_e32 v13, v14
	v_lshl_add_u64 v[2:3], v[2:3], 4, v[0:1]
	v_lshl_add_u64 v[12:13], v[12:13], 4, v[0:1]
	global_load_dwordx4 v[28:31], v[2:3], off
	global_load_dwordx4 v[24:27], v[12:13], off
	v_add_u32_e32 v13, 0x2d0, v144
	v_mad_u64_u32 v[2:3], s[4:5], s18, v13, 0
	v_mov_b32_e32 v12, v3
	v_mad_u64_u32 v[12:13], s[4:5], s19, v13, v[12:13]
	v_add_u32_e32 v15, 0x348, v144
	v_mov_b32_e32 v3, v12
	v_mad_u64_u32 v[12:13], s[4:5], s18, v15, 0
	v_mov_b32_e32 v14, v13
	v_mad_u64_u32 v[14:15], s[4:5], s19, v15, v[14:15]
	v_mov_b32_e32 v13, v14
	;; [unrolled: 14-line block ×3, first 2 shown]
	v_lshl_add_u64 v[2:3], v[2:3], 4, v[0:1]
	v_lshl_add_u64 v[12:13], v[12:13], 4, v[0:1]
	global_load_dwordx4 v[44:47], v[2:3], off
	global_load_dwordx4 v[40:43], v[12:13], off
	v_add_u32_e32 v13, 0x4b0, v144
	v_mad_u64_u32 v[2:3], s[4:5], s18, v13, 0
	v_mov_b32_e32 v12, v3
	v_mad_u64_u32 v[12:13], s[4:5], s19, v13, v[12:13]
	v_mov_b32_e32 v3, v12
	v_lshl_add_u64 v[0:1], v[2:3], 4, v[0:1]
	global_load_dwordx4 v[48:51], v[0:1], off
.LBB0_11:
	s_or_b64 exec, exec, s[10:11]
	s_mov_b32 s4, 0x8eee2c13
	s_waitcnt vmcnt(0)
	v_add_f64 v[64:65], v[6:7], -v[50:51]
	s_mov_b32 s10, 0xd9c712b6
	s_mov_b32 s5, 0xbfed1bb4
	;; [unrolled: 1-line block ×3, first 2 shown]
	v_add_f64 v[66:67], v[4:5], v[48:49]
	s_mov_b32 s11, 0x3fda9628
	v_mul_f64 v[74:75], v[64:65], s[4:5]
	v_add_f64 v[68:69], v[18:19], -v[42:43]
	s_mov_b32 s14, 0x7f775887
	s_mov_b32 s13, 0xbfe82f19
	v_fma_f64 v[0:1], v[66:67], s[10:11], -v[74:75]
	v_add_f64 v[70:71], v[16:17], v[40:41]
	s_mov_b32 s15, 0xbfe4f49e
	v_mul_f64 v[86:87], v[68:69], s[12:13]
	v_add_f64 v[80:81], v[4:5], -v[48:49]
	v_add_f64 v[0:1], v[0:1], v[8:9]
	v_fma_f64 v[2:3], v[70:71], s[14:15], -v[86:87]
	v_add_f64 v[72:73], v[6:7], v[50:51]
	v_mul_f64 v[92:93], v[80:81], s[4:5]
	v_add_f64 v[84:85], v[16:17], -v[40:41]
	s_mov_b32 s24, 0xfd768dbf
	v_add_f64 v[0:1], v[2:3], v[0:1]
	v_fma_f64 v[2:3], s[10:11], v[72:73], v[92:93]
	v_add_f64 v[76:77], v[18:19], v[42:43]
	v_mul_f64 v[94:95], v[84:85], s[12:13]
	s_mov_b32 s18, 0x9bcd5057
	s_mov_b32 s25, 0x3fd207e7
	v_add_f64 v[78:79], v[22:23], -v[46:47]
	v_add_f64 v[2:3], v[2:3], v[10:11]
	v_fma_f64 v[12:13], s[14:15], v[76:77], v[94:95]
	s_mov_b32 s19, 0xbfeeb42a
	v_add_f64 v[88:89], v[44:45], v[20:21]
	v_mul_f64 v[102:103], v[78:79], s[24:25]
	v_add_f64 v[98:99], v[20:21], -v[44:45]
	s_mov_b32 s22, 0x43842ef
	v_add_f64 v[2:3], v[12:13], v[2:3]
	v_fma_f64 v[12:13], v[88:89], s[18:19], -v[102:103]
	v_add_f64 v[82:83], v[46:47], v[22:23]
	v_mul_f64 v[106:107], v[98:99], s[24:25]
	s_mov_b32 s26, 0x640f44db
	s_mov_b32 s23, 0xbfefac9e
	;; [unrolled: 1-line block ×4, first 2 shown]
	v_add_f64 v[90:91], v[30:31], -v[38:39]
	v_add_f64 v[0:1], v[12:13], v[0:1]
	v_fma_f64 v[12:13], s[18:19], v[82:83], v[106:107]
	s_mov_b32 s27, 0xbfc2375f
	v_add_f64 v[100:101], v[36:37], v[28:29]
	v_mul_f64 v[112:113], v[90:91], s[34:35]
	v_add_f64 v[108:109], v[28:29], -v[36:37]
	s_mov_b32 s28, 0xf8bb580b
	v_add_f64 v[2:3], v[12:13], v[2:3]
	v_fma_f64 v[12:13], v[100:101], s[26:27], -v[112:113]
	v_add_f64 v[96:97], v[38:39], v[30:31]
	v_mul_f64 v[116:117], v[108:109], s[34:35]
	s_mov_b32 s30, 0x8764f0ba
	s_mov_b32 s29, 0xbfe14ced
	;; [unrolled: 1-line block ×4, first 2 shown]
	v_add_f64 v[104:105], v[26:27], -v[34:35]
	v_add_f64 v[0:1], v[12:13], v[0:1]
	v_fma_f64 v[12:13], s[26:27], v[96:97], v[116:117]
	s_mov_b32 s31, 0x3feaeb8c
	v_add_f64 v[114:115], v[24:25], v[32:33]
	v_mul_f64 v[120:121], v[104:105], s[36:37]
	v_add_f64 v[118:119], v[24:25], -v[32:33]
	v_add_f64 v[2:3], v[12:13], v[2:3]
	v_fma_f64 v[12:13], v[114:115], s[30:31], -v[120:121]
	v_add_f64 v[110:111], v[26:27], v[34:35]
	v_mul_f64 v[122:123], v[118:119], s[36:37]
	v_add_f64 v[0:1], v[12:13], v[0:1]
	v_fma_f64 v[12:13], s[30:31], v[110:111], v[122:123]
	v_mul_f64 v[124:125], v[64:65], s[22:23]
	v_add_f64 v[2:3], v[12:13], v[2:3]
	v_fma_f64 v[12:13], v[66:67], s[26:27], -v[124:125]
	v_mul_f64 v[126:127], v[68:69], s[24:25]
	v_add_f64 v[12:13], v[12:13], v[8:9]
	v_fma_f64 v[14:15], v[70:71], s[18:19], -v[126:127]
	v_mul_f64 v[132:133], v[80:81], s[22:23]
	v_add_f64 v[12:13], v[14:15], v[12:13]
	v_fma_f64 v[14:15], s[26:27], v[72:73], v[132:133]
	v_mul_f64 v[136:137], v[84:85], s[24:25]
	s_mov_b32 s39, 0x3fed1bb4
	s_mov_b32 s38, s4
	v_add_f64 v[14:15], v[14:15], v[10:11]
	v_fma_f64 v[52:53], s[18:19], v[76:77], v[136:137]
	v_mul_f64 v[128:129], v[78:79], s[38:39]
	v_add_f64 v[14:15], v[52:53], v[14:15]
	v_fma_f64 v[52:53], v[88:89], s[10:11], -v[128:129]
	v_mul_f64 v[138:139], v[98:99], s[38:39]
	v_add_f64 v[12:13], v[52:53], v[12:13]
	v_fma_f64 v[52:53], s[10:11], v[82:83], v[138:139]
	v_mul_f64 v[130:131], v[90:91], s[28:29]
	v_add_f64 v[14:15], v[52:53], v[14:15]
	v_fma_f64 v[52:53], v[100:101], s[30:31], -v[130:131]
	v_mul_f64 v[140:141], v[108:109], s[28:29]
	v_add_f64 v[12:13], v[52:53], v[12:13]
	v_fma_f64 v[52:53], s[30:31], v[96:97], v[140:141]
	v_mul_f64 v[134:135], v[104:105], s[12:13]
	v_add_f64 v[14:15], v[52:53], v[14:15]
	v_fma_f64 v[52:53], v[114:115], s[14:15], -v[134:135]
	v_mul_f64 v[142:143], v[118:119], s[12:13]
	v_add_f64 v[12:13], v[52:53], v[12:13]
	v_fma_f64 v[52:53], s[14:15], v[110:111], v[142:143]
	v_add_f64 v[14:15], v[52:53], v[14:15]
	s_and_saveexec_b64 s[20:21], s[0:1]
	s_cbranch_execz .LBB0_13
; %bb.12:
	s_mov_b32 s1, 0xbfd207e7
	s_mov_b32 s0, s24
	v_mul_f64 v[152:153], v[80:81], s[0:1]
	v_mul_f64 v[148:149], v[84:85], s[36:37]
	v_fma_f64 v[154:155], s[18:19], v[72:73], v[152:153]
	v_mul_f64 v[146:147], v[98:99], s[12:13]
	v_fma_f64 v[150:151], s[30:31], v[76:77], v[148:149]
	v_add_f64 v[154:155], v[154:155], v[10:11]
	v_mul_f64 v[58:59], v[108:109], s[38:39]
	v_fma_f64 v[54:55], s[14:15], v[82:83], v[146:147]
	v_add_f64 v[150:151], v[150:151], v[154:155]
	;; [unrolled: 3-line block ×3, first 2 shown]
	v_mul_f64 v[156:157], v[70:71], s[30:31]
	v_fma_f64 v[160:161], s[24:25], v[64:65], v[158:159]
	v_fma_f64 v[152:153], v[72:73], s[18:19], -v[152:153]
	v_add_f64 v[52:53], v[52:53], v[54:55]
	v_mul_f64 v[154:155], v[88:89], s[14:15]
	s_mov_b32 s41, 0x3fe82f19
	s_mov_b32 s40, s12
	v_fma_f64 v[54:55], s[28:29], v[68:69], v[156:157]
	v_add_f64 v[160:161], v[160:161], v[8:9]
	v_fma_f64 v[148:149], v[76:77], s[30:31], -v[148:149]
	v_add_f64 v[152:153], v[152:153], v[10:11]
	v_mul_f64 v[150:151], v[100:101], s[10:11]
	v_add_f64 v[54:55], v[54:55], v[160:161]
	v_fma_f64 v[160:161], s[40:41], v[78:79], v[154:155]
	v_fma_f64 v[146:147], v[82:83], s[14:15], -v[146:147]
	v_add_f64 v[148:149], v[148:149], v[152:153]
	v_mul_f64 v[56:57], v[118:119], s[22:23]
	v_add_f64 v[54:55], v[160:161], v[54:55]
	v_fma_f64 v[160:161], s[4:5], v[90:91], v[150:151]
	v_fma_f64 v[58:59], v[96:97], s[10:11], -v[58:59]
	v_add_f64 v[146:147], v[146:147], v[148:149]
	v_add_f64 v[160:161], v[160:161], v[54:55]
	v_fma_f64 v[54:55], s[26:27], v[110:111], v[56:57]
	v_fma_f64 v[56:57], v[110:111], s[26:27], -v[56:57]
	v_add_f64 v[58:59], v[58:59], v[146:147]
	v_fmac_f64_e32 v[158:159], s[0:1], v[64:65]
	v_mul_f64 v[162:163], v[114:115], s[26:27]
	v_add_f64 v[58:59], v[56:57], v[58:59]
	v_fmac_f64_e32 v[156:157], s[36:37], v[68:69]
	v_add_f64 v[56:57], v[158:159], v[8:9]
	v_add_f64 v[54:55], v[54:55], v[52:53]
	v_fma_f64 v[52:53], s[34:35], v[104:105], v[162:163]
	v_fmac_f64_e32 v[154:155], s[12:13], v[78:79]
	v_add_f64 v[56:57], v[156:157], v[56:57]
	v_mul_f64 v[158:159], v[80:81], s[12:13]
	v_add_f64 v[52:53], v[52:53], v[160:161]
	v_add_f64 v[56:57], v[154:155], v[56:57]
	v_mul_f64 v[154:155], v[84:85], s[34:35]
	v_fma_f64 v[160:161], s[14:15], v[72:73], v[158:159]
	v_fmac_f64_e32 v[150:151], s[38:39], v[90:91]
	v_mul_f64 v[152:153], v[98:99], s[28:29]
	v_fma_f64 v[156:157], s[26:27], v[76:77], v[154:155]
	v_add_f64 v[160:161], v[160:161], v[10:11]
	v_fma_f64 v[158:159], v[72:73], s[14:15], -v[158:159]
	v_add_f64 v[56:57], v[150:151], v[56:57]
	v_mul_f64 v[150:151], v[108:109], s[0:1]
	v_fma_f64 v[148:149], s[30:31], v[82:83], v[152:153]
	v_add_f64 v[156:157], v[156:157], v[160:161]
	v_fma_f64 v[154:155], v[76:77], s[26:27], -v[154:155]
	v_add_f64 v[158:159], v[158:159], v[10:11]
	v_fma_f64 v[146:147], s[18:19], v[96:97], v[150:151]
	v_add_f64 v[148:149], v[148:149], v[156:157]
	v_mul_f64 v[160:161], v[66:67], s[14:15]
	v_add_f64 v[154:155], v[154:155], v[158:159]
	v_fma_f64 v[152:153], v[82:83], s[30:31], -v[152:153]
	v_add_f64 v[146:147], v[146:147], v[148:149]
	v_fma_f64 v[148:149], s[40:41], v[64:65], v[160:161]
	v_add_f64 v[152:153], v[152:153], v[154:155]
	v_fma_f64 v[150:151], v[96:97], s[18:19], -v[150:151]
	v_fmac_f64_e32 v[160:161], s[12:13], v[64:65]
	v_add_f64 v[150:151], v[150:151], v[152:153]
	v_add_f64 v[152:153], v[160:161], v[8:9]
	v_mul_f64 v[160:161], v[110:111], s[14:15]
	v_fmac_f64_e32 v[162:163], s[22:23], v[104:105]
	v_mul_f64 v[156:157], v[70:71], s[26:27]
	v_add_f64 v[142:143], v[160:161], -v[142:143]
	v_mul_f64 v[160:161], v[96:97], s[30:31]
	v_add_f64 v[56:57], v[162:163], v[56:57]
	v_add_f64 v[148:149], v[148:149], v[8:9]
	v_fma_f64 v[162:163], s[22:23], v[68:69], v[156:157]
	v_add_f64 v[140:141], v[160:161], -v[140:141]
	v_mul_f64 v[160:161], v[82:83], s[10:11]
	v_add_f64 v[148:149], v[162:163], v[148:149]
	v_mul_f64 v[162:163], v[88:89], s[30:31]
	v_add_f64 v[138:139], v[160:161], -v[138:139]
	v_mul_f64 v[160:161], v[76:77], s[18:19]
	v_fma_f64 v[164:165], s[36:37], v[78:79], v[162:163]
	v_add_f64 v[136:137], v[160:161], -v[136:137]
	v_mul_f64 v[160:161], v[72:73], s[26:27]
	v_add_f64 v[148:149], v[164:165], v[148:149]
	v_mul_f64 v[164:165], v[100:101], s[18:19]
	v_fmac_f64_e32 v[156:157], s[34:35], v[68:69]
	v_add_f64 v[132:133], v[160:161], -v[132:133]
	v_fma_f64 v[166:167], s[24:25], v[90:91], v[164:165]
	v_mul_f64 v[168:169], v[118:119], s[38:39]
	v_add_f64 v[152:153], v[156:157], v[152:153]
	v_fmac_f64_e32 v[162:163], s[28:29], v[78:79]
	v_add_f64 v[132:133], v[132:133], v[10:11]
	v_add_f64 v[166:167], v[166:167], v[148:149]
	v_fma_f64 v[148:149], s[10:11], v[110:111], v[168:169]
	v_mul_f64 v[170:171], v[114:115], s[10:11]
	v_add_f64 v[152:153], v[162:163], v[152:153]
	v_fmac_f64_e32 v[164:165], s[0:1], v[90:91]
	v_add_f64 v[132:133], v[136:137], v[132:133]
	v_add_f64 v[148:149], v[148:149], v[146:147]
	v_fma_f64 v[146:147], s[4:5], v[104:105], v[170:171]
	v_add_f64 v[156:157], v[164:165], v[152:153]
	v_fma_f64 v[152:153], v[110:111], s[10:11], -v[168:169]
	v_fmac_f64_e32 v[170:171], s[38:39], v[104:105]
	v_add_f64 v[132:133], v[138:139], v[132:133]
	v_add_f64 v[152:153], v[152:153], v[150:151]
	;; [unrolled: 1-line block ×3, first 2 shown]
	v_mul_f64 v[156:157], v[66:67], s[26:27]
	v_add_f64 v[132:133], v[140:141], v[132:133]
	v_mul_f64 v[140:141], v[114:115], s[14:15]
	v_mul_f64 v[158:159], v[72:73], s[10:11]
	;; [unrolled: 1-line block ×3, first 2 shown]
	v_add_f64 v[134:135], v[134:135], v[140:141]
	v_mul_f64 v[140:141], v[100:101], s[30:31]
	v_add_f64 v[124:125], v[124:125], v[156:157]
	v_mul_f64 v[154:155], v[66:67], s[10:11]
	v_mul_f64 v[136:137], v[76:77], s[14:15]
	v_add_f64 v[130:131], v[130:131], v[140:141]
	v_mul_f64 v[140:141], v[88:89], s[10:11]
	v_add_f64 v[126:127], v[126:127], v[138:139]
	v_add_f64 v[124:125], v[124:125], v[8:9]
	v_add_f64 v[92:93], v[158:159], -v[92:93]
	v_mul_f64 v[160:161], v[70:71], s[14:15]
	v_add_f64 v[128:129], v[128:129], v[140:141]
	v_mul_f64 v[138:139], v[82:83], s[18:19]
	v_add_f64 v[124:125], v[126:127], v[124:125]
	v_add_f64 v[94:95], v[136:137], -v[94:95]
	v_add_f64 v[92:93], v[92:93], v[10:11]
	v_add_f64 v[74:75], v[74:75], v[154:155]
	v_mul_f64 v[140:141], v[88:89], s[18:19]
	v_mul_f64 v[162:163], v[96:97], s[26:27]
	v_add_f64 v[124:125], v[128:129], v[124:125]
	v_add_f64 v[106:107], v[138:139], -v[106:107]
	v_add_f64 v[92:93], v[94:95], v[92:93]
	v_add_f64 v[86:87], v[86:87], v[160:161]
	;; [unrolled: 1-line block ×3, first 2 shown]
	v_mul_f64 v[156:157], v[100:101], s[26:27]
	v_add_f64 v[124:125], v[130:131], v[124:125]
	v_mul_f64 v[130:131], v[110:111], s[30:31]
	v_add_f64 v[116:117], v[162:163], -v[116:117]
	v_add_f64 v[92:93], v[106:107], v[92:93]
	v_add_f64 v[102:103], v[102:103], v[140:141]
	;; [unrolled: 1-line block ×3, first 2 shown]
	v_mul_f64 v[128:129], v[114:115], s[30:31]
	v_add_f64 v[122:123], v[130:131], -v[122:123]
	v_add_f64 v[92:93], v[116:117], v[92:93]
	v_add_f64 v[106:107], v[112:113], v[156:157]
	;; [unrolled: 1-line block ×3, first 2 shown]
	v_mul_f64 v[80:81], v[80:81], s[28:29]
	v_add_f64 v[6:7], v[6:7], v[10:11]
	v_add_f64 v[4:5], v[4:5], v[8:9]
	;; [unrolled: 1-line block ×5, first 2 shown]
	v_mul_f64 v[112:113], v[84:85], s[4:5]
	v_fma_f64 v[116:117], s[30:31], v[72:73], v[80:81]
	v_add_f64 v[6:7], v[18:19], v[6:7]
	v_add_f64 v[4:5], v[16:17], v[4:5]
	;; [unrolled: 1-line block ×3, first 2 shown]
	v_mul_f64 v[74:75], v[118:119], s[0:1]
	v_mul_f64 v[98:99], v[98:99], s[22:23]
	v_fma_f64 v[84:85], s[10:11], v[76:77], v[112:113]
	v_add_f64 v[116:117], v[116:117], v[10:11]
	v_mul_f64 v[118:119], v[66:67], s[30:31]
	v_add_f64 v[6:7], v[22:23], v[6:7]
	v_add_f64 v[4:5], v[20:21], v[4:5]
	v_mul_f64 v[102:103], v[108:109], s[12:13]
	v_fma_f64 v[108:109], s[26:27], v[82:83], v[98:99]
	v_add_f64 v[84:85], v[84:85], v[116:117]
	v_mul_f64 v[70:71], v[70:71], s[10:11]
	v_fma_f64 v[66:67], s[36:37], v[64:65], v[118:119]
	v_add_f64 v[6:7], v[30:31], v[6:7]
	v_add_f64 v[4:5], v[28:29], v[4:5]
	v_fma_f64 v[106:107], s[14:15], v[96:97], v[102:103]
	v_add_f64 v[84:85], v[108:109], v[84:85]
	v_mul_f64 v[88:89], v[88:89], s[26:27]
	v_fma_f64 v[116:117], s[38:39], v[68:69], v[70:71]
	v_add_f64 v[66:67], v[66:67], v[8:9]
	v_add_f64 v[6:7], v[26:27], v[6:7]
	;; [unrolled: 1-line block ×4, first 2 shown]
	v_mul_f64 v[106:107], v[114:115], s[18:19]
	v_mul_f64 v[100:101], v[100:101], s[14:15]
	v_fma_f64 v[114:115], s[34:35], v[78:79], v[88:89]
	v_add_f64 v[66:67], v[116:117], v[66:67]
	v_fma_f64 v[72:73], v[72:73], s[30:31], -v[80:81]
	v_fmac_f64_e32 v[118:119], s[28:29], v[64:65]
	v_add_f64 v[6:7], v[34:35], v[6:7]
	v_add_f64 v[4:5], v[32:33], v[4:5]
	v_fma_f64 v[86:87], s[18:19], v[110:111], v[74:75]
	v_fma_f64 v[108:109], s[40:41], v[90:91], v[100:101]
	v_add_f64 v[66:67], v[114:115], v[66:67]
	v_fma_f64 v[76:77], v[76:77], s[10:11], -v[112:113]
	v_add_f64 v[72:73], v[72:73], v[10:11]
	v_fmac_f64_e32 v[70:71], s[4:5], v[68:69]
	v_add_f64 v[64:65], v[118:119], v[8:9]
	v_add_f64 v[6:7], v[38:39], v[6:7]
	;; [unrolled: 1-line block ×4, first 2 shown]
	v_fma_f64 v[84:85], s[24:25], v[104:105], v[106:107]
	v_add_f64 v[66:67], v[108:109], v[66:67]
	v_fma_f64 v[82:83], v[82:83], s[26:27], -v[98:99]
	v_add_f64 v[72:73], v[76:77], v[72:73]
	v_fmac_f64_e32 v[88:89], s[22:23], v[78:79]
	v_add_f64 v[64:65], v[70:71], v[64:65]
	v_add_f64 v[6:7], v[46:47], v[6:7]
	v_add_f64 v[4:5], v[44:45], v[4:5]
	v_add_f64 v[84:85], v[84:85], v[66:67]
	v_fma_f64 v[66:67], v[110:111], s[18:19], -v[74:75]
	v_fma_f64 v[74:75], v[96:97], s[14:15], -v[102:103]
	v_add_f64 v[72:73], v[82:83], v[72:73]
	v_fmac_f64_e32 v[106:107], s[0:1], v[104:105]
	v_fmac_f64_e32 v[100:101], s[12:13], v[90:91]
	v_add_f64 v[64:65], v[88:89], v[64:65]
	v_add_f64 v[6:7], v[42:43], v[6:7]
	;; [unrolled: 1-line block ×3, first 2 shown]
	s_movk_i32 s0, 0xb0
	v_add_f64 v[72:73], v[74:75], v[72:73]
	v_add_f64 v[64:65], v[100:101], v[64:65]
	;; [unrolled: 1-line block ×4, first 2 shown]
	v_mad_u32_u24 v8, v144, s0, 0
	v_add_f64 v[146:147], v[146:147], v[166:167]
	v_add_f64 v[126:127], v[142:143], v[132:133]
	;; [unrolled: 1-line block ×5, first 2 shown]
	ds_write_b128 v8, v[4:7]
	ds_write_b128 v8, v[64:67] offset:16
	ds_write_b128 v8, v[92:95] offset:32
	;; [unrolled: 1-line block ×10, first 2 shown]
.LBB0_13:
	s_or_b64 exec, exec, s[20:21]
	s_movk_i32 s0, 0x75
	v_add_u32_e32 v44, 0x14a, v144
	v_mul_lo_u16_sdwa v16, v144, s0 dst_sel:DWORD dst_unused:UNUSED_PAD src0_sel:BYTE_0 src1_sel:DWORD
	s_mov_b32 s0, 0xba2f
	v_mul_u32_u24_sdwa v45, v44, s0 dst_sel:DWORD dst_unused:UNUSED_PAD src0_sel:WORD_0 src1_sel:DWORD
	v_sub_u16_sdwa v17, v144, v16 dst_sel:DWORD dst_unused:UNUSED_PAD src0_sel:DWORD src1_sel:BYTE_1
	v_lshrrev_b32_e32 v47, 19, v45
	v_lshrrev_b16_e32 v17, 1, v17
	v_mul_lo_u16_e32 v4, 11, v47
	v_and_b32_e32 v17, 0x7f, v17
	v_add_u32_e32 v28, 0x1ef, v144
	v_sub_u16_e32 v4, v44, v4
	v_add_u16_sdwa v16, v17, v16 dst_sel:DWORD dst_unused:UNUSED_PAD src0_sel:DWORD src1_sel:BYTE_1
	v_add_u32_e32 v40, 0xa5, v144
	v_lshlrev_b32_e32 v72, 4, v4
	v_mul_u32_u24_sdwa v4, v28, s0 dst_sel:DWORD dst_unused:UNUSED_PAD src0_sel:WORD_0 src1_sel:DWORD
	v_lshrrev_b16_e32 v69, 3, v16
	v_lshrrev_b32_e32 v68, 19, v4
	v_mul_lo_u16_e32 v16, 11, v69
	v_mul_u32_u24_sdwa v46, v40, s0 dst_sel:DWORD dst_unused:UNUSED_PAD src0_sel:WORD_0 src1_sel:DWORD
	v_mul_lo_u16_e32 v4, 11, v68
	v_sub_u16_e32 v16, v144, v16
	v_mov_b32_e32 v43, 4
	v_lshrrev_b32_e32 v71, 19, v46
	s_load_dwordx2 s[2:3], s[2:3], 0x0
	s_waitcnt lgkmcnt(0)
	s_barrier
	v_sub_u16_e32 v8, v28, v4
	global_load_dwordx4 v[4:7], v72, s[8:9]
	v_lshlrev_b32_sdwa v70, v43, v16 dst_sel:DWORD dst_unused:UNUSED_PAD src0_sel:DWORD src1_sel:BYTE_0
	v_mul_lo_u16_e32 v16, 11, v71
	v_lshlrev_b32_e32 v73, 4, v8
	v_sub_u16_e32 v20, v40, v16
	global_load_dwordx4 v[16:19], v70, s[8:9]
	global_load_dwordx4 v[8:11], v73, s[8:9]
	v_lshlrev_b32_e32 v74, 4, v20
	global_load_dwordx4 v[20:23], v74, s[8:9]
	v_lshl_add_u32 v41, v144, 4, 0
	v_lshl_add_u32 v64, v28, 4, 0
	s_mov_b32 s1, 0x5040100
	ds_read_b128 v[24:27], v41
	ds_read_b128 v[32:35], v41 offset:2640
	ds_read_b128 v[36:39], v41 offset:10560
	;; [unrolled: 1-line block ×3, first 2 shown]
	v_lshl_add_u32 v42, v44, 4, 0
	ds_read_b128 v[28:31], v41 offset:15840
	ds_read_b128 v[52:55], v41 offset:18480
	ds_read_b128 v[56:59], v42
	ds_read_b128 v[64:67], v64
	v_perm_b32 v47, v68, v47, s1
	v_mul_u32_u24_e32 v68, 0x160, v69
	v_add3_u32 v75, 0, v68, v70
	v_mul_u32_u24_e32 v71, 0x160, v71
	v_add3_u32 v74, 0, v71, v74
	s_movk_i32 s0, 0x160
	s_waitcnt lgkmcnt(0)
	s_barrier
	s_waitcnt vmcnt(3)
	v_mul_f64 v[68:69], v[30:31], v[6:7]
	v_mul_f64 v[6:7], v[28:29], v[6:7]
	v_fmac_f64_e32 v[68:69], v[28:29], v[4:5]
	v_fma_f64 v[6:7], v[30:31], v[4:5], -v[6:7]
	v_add_f64 v[4:5], v[56:57], -v[68:69]
	v_add_f64 v[6:7], v[58:59], -v[6:7]
	s_waitcnt vmcnt(1)
	v_mul_f64 v[70:71], v[54:55], v[10:11]
	v_mul_f64 v[10:11], v[52:53], v[10:11]
	v_fmac_f64_e32 v[70:71], v[52:53], v[8:9]
	v_fma_f64 v[8:9], v[54:55], v[8:9], -v[10:11]
	v_fma_f64 v[52:53], v[56:57], 2.0, -v[4:5]
	v_fma_f64 v[54:55], v[58:59], 2.0, -v[6:7]
	v_mul_f64 v[56:57], v[38:39], v[18:19]
	v_mul_f64 v[18:19], v[36:37], v[18:19]
	s_waitcnt vmcnt(0)
	v_mul_f64 v[58:59], v[50:51], v[22:23]
	v_mul_f64 v[22:23], v[48:49], v[22:23]
	v_fmac_f64_e32 v[56:57], v[36:37], v[16:17]
	v_fma_f64 v[18:19], v[38:39], v[16:17], -v[18:19]
	v_fmac_f64_e32 v[58:59], v[48:49], v[20:21]
	v_fma_f64 v[22:23], v[50:51], v[20:21], -v[22:23]
	v_add_f64 v[16:17], v[24:25], -v[56:57]
	v_add_f64 v[18:19], v[26:27], -v[18:19]
	;; [unrolled: 1-line block ×4, first 2 shown]
	v_fma_f64 v[24:25], v[24:25], 2.0, -v[16:17]
	v_fma_f64 v[26:27], v[26:27], 2.0, -v[18:19]
	;; [unrolled: 1-line block ×4, first 2 shown]
	ds_write_b128 v75, v[16:19] offset:176
	ds_write_b128 v75, v[24:27]
	ds_write_b128 v74, v[32:35]
	ds_write_b128 v74, v[20:23] offset:176
	v_pk_mul_lo_u16 v16, v47, s0 op_sel_hi:[1,0]
	v_add_f64 v[28:29], v[64:65], -v[70:71]
	v_and_b32_e32 v17, 0xffe0, v16
	v_add3_u32 v17, 0, v17, v72
	v_add_f64 v[30:31], v[66:67], -v[8:9]
	ds_write_b128 v17, v[52:55]
	ds_write_b128 v17, v[4:7] offset:176
	v_lshrrev_b32_e32 v4, 16, v16
	v_fma_f64 v[8:9], v[64:65], 2.0, -v[28:29]
	v_fma_f64 v[10:11], v[66:67], 2.0, -v[30:31]
	v_add3_u32 v4, 0, v4, v73
	ds_write_b128 v4, v[8:11]
	ds_write_b128 v4, v[28:31] offset:176
	s_waitcnt lgkmcnt(0)
	s_barrier
	ds_read_b128 v[20:23], v41
	ds_read_b128 v[4:7], v41 offset:2640
	ds_read_b128 v[16:19], v41 offset:7040
	;; [unrolled: 1-line block ×5, first 2 shown]
	s_movk_i32 s0, 0x6e
	v_cmp_gt_u32_e64 s[0:1], s0, v144
	s_and_saveexec_b64 s[4:5], s[0:1]
	s_cbranch_execz .LBB0_15
; %bb.14:
	ds_read_b128 v[8:11], v42
	ds_read_b128 v[28:31], v41 offset:12320
	ds_read_b128 v[12:15], v41 offset:19360
.LBB0_15:
	s_or_b64 exec, exec, s[4:5]
	v_lshrrev_b32_e32 v82, 20, v46
	v_mul_lo_u16_e32 v46, 22, v82
	v_sub_u16_e32 v83, v40, v46
	v_lshlrev_b32_e32 v54, 5, v83
	v_lshrrev_b32_e32 v45, 20, v45
	global_load_dwordx4 v[46:49], v54, s[8:9] offset:192
	global_load_dwordx4 v[50:53], v54, s[8:9] offset:176
	v_mul_lo_u16_e32 v54, 22, v45
	v_sub_u16_e32 v44, v44, v54
	v_lshlrev_b32_e32 v58, 5, v44
	global_load_dwordx4 v[54:57], v58, s[8:9] offset:176
	global_load_dwordx4 v[64:67], v58, s[8:9] offset:192
	v_lshrrev_b16_e32 v58, 1, v144
	v_and_b32_e32 v58, 0x7f, v58
	v_mul_lo_u16_e32 v58, 0xbb, v58
	v_lshrrev_b16_e32 v84, 11, v58
	v_mul_lo_u16_e32 v58, 22, v84
	v_mov_b32_e32 v59, 5
	v_sub_u16_e32 v85, v144, v58
	v_lshlrev_b32_sdwa v58, v59, v85 dst_sel:DWORD dst_unused:UNUSED_PAD src0_sel:DWORD src1_sel:BYTE_0
	global_load_dwordx4 v[68:71], v58, s[8:9] offset:176
	global_load_dwordx4 v[72:75], v58, s[8:9] offset:192
	s_mov_b32 s4, 0xe8584caa
	s_mov_b32 s5, 0xbfebb67a
	;; [unrolled: 1-line block ×4, first 2 shown]
	v_lshlrev_b32_sdwa v43, v43, v85 dst_sel:DWORD dst_unused:UNUSED_PAD src0_sel:DWORD src1_sel:BYTE_0
	s_waitcnt lgkmcnt(0)
	s_barrier
	s_waitcnt vmcnt(5)
	v_mul_f64 v[76:77], v[38:39], v[48:49]
	s_waitcnt vmcnt(4)
	v_mul_f64 v[58:59], v[34:35], v[52:53]
	v_mul_f64 v[52:53], v[32:33], v[52:53]
	;; [unrolled: 1-line block ×3, first 2 shown]
	s_waitcnt vmcnt(3)
	v_mul_f64 v[78:79], v[30:31], v[56:57]
	s_waitcnt vmcnt(2)
	v_mul_f64 v[80:81], v[14:15], v[66:67]
	v_mul_f64 v[66:67], v[12:13], v[66:67]
	;; [unrolled: 1-line block ×3, first 2 shown]
	v_fmac_f64_e32 v[58:59], v[32:33], v[50:51]
	v_fma_f64 v[32:33], v[34:35], v[50:51], -v[52:53]
	v_fmac_f64_e32 v[76:77], v[36:37], v[46:47]
	v_fma_f64 v[34:35], v[38:39], v[46:47], -v[48:49]
	;; [unrolled: 2-line block ×3, first 2 shown]
	s_waitcnt vmcnt(1)
	v_mul_f64 v[64:65], v[18:19], v[70:71]
	v_mul_f64 v[66:67], v[16:17], v[70:71]
	s_waitcnt vmcnt(0)
	v_mul_f64 v[70:71], v[26:27], v[74:75]
	v_fmac_f64_e32 v[78:79], v[28:29], v[54:55]
	v_fma_f64 v[28:29], v[30:31], v[54:55], -v[56:57]
	v_add_f64 v[30:31], v[58:59], v[76:77]
	v_add_f64 v[36:37], v[32:33], -v[34:35]
	v_add_f64 v[38:39], v[6:7], v[32:33]
	v_add_f64 v[32:33], v[32:33], v[34:35]
	v_mul_f64 v[74:75], v[24:25], v[74:75]
	v_fmac_f64_e32 v[64:65], v[16:17], v[68:69]
	v_fmac_f64_e32 v[70:71], v[24:25], v[72:73]
	v_add_f64 v[12:13], v[4:5], v[58:59]
	v_add_f64 v[46:47], v[58:59], -v[76:77]
	v_fmac_f64_e32 v[4:5], -0.5, v[30:31]
	v_add_f64 v[30:31], v[38:39], v[34:35]
	v_fmac_f64_e32 v[6:7], -0.5, v[32:33]
	v_fma_f64 v[32:33], v[18:19], v[68:69], -v[66:67]
	v_fma_f64 v[34:35], v[26:27], v[72:73], -v[74:75]
	v_add_f64 v[38:39], v[64:65], v[70:71]
	v_add_f64 v[48:49], v[8:9], v[78:79]
	;; [unrolled: 1-line block ×3, first 2 shown]
	v_fma_f64 v[24:25], s[4:5], v[36:37], v[4:5]
	v_fmac_f64_e32 v[4:5], s[10:11], v[36:37]
	v_fma_f64 v[26:27], s[10:11], v[46:47], v[6:7]
	v_fmac_f64_e32 v[6:7], s[4:5], v[46:47]
	v_add_f64 v[36:37], v[20:21], v[64:65]
	v_add_f64 v[46:47], v[32:33], -v[34:35]
	v_fmac_f64_e32 v[20:21], -0.5, v[38:39]
	v_add_f64 v[52:53], v[28:29], -v[14:15]
	v_add_f64 v[54:55], v[10:11], v[28:29]
	v_add_f64 v[56:57], v[28:29], v[14:15]
	;; [unrolled: 1-line block ×4, first 2 shown]
	v_fmac_f64_e32 v[8:9], -0.5, v[50:51]
	v_add_f64 v[48:49], v[22:23], v[32:33]
	v_add_f64 v[50:51], v[32:33], v[34:35]
	v_add_f64 v[32:33], v[36:37], v[70:71]
	v_fma_f64 v[36:37], s[4:5], v[46:47], v[20:21]
	v_fmac_f64_e32 v[20:21], s[10:11], v[46:47]
	v_mul_u32_u24_e32 v46, 0x420, v84
	v_fma_f64 v[16:17], s[4:5], v[52:53], v[8:9]
	v_fmac_f64_e32 v[8:9], s[10:11], v[52:53]
	v_add_f64 v[52:53], v[64:65], -v[70:71]
	v_add_f64 v[34:35], v[48:49], v[34:35]
	v_fmac_f64_e32 v[22:23], -0.5, v[50:51]
	v_add3_u32 v43, 0, v46, v43
	v_add_f64 v[58:59], v[78:79], -v[80:81]
	v_fmac_f64_e32 v[10:11], -0.5, v[56:57]
	v_fma_f64 v[38:39], s[10:11], v[52:53], v[22:23]
	v_fmac_f64_e32 v[22:23], s[4:5], v[52:53]
	ds_write_b128 v43, v[32:35]
	ds_write_b128 v43, v[36:39] offset:352
	ds_write_b128 v43, v[20:23] offset:704
	v_mul_u32_u24_e32 v20, 0x420, v82
	v_lshlrev_b32_e32 v21, 4, v83
	v_add_f64 v[14:15], v[54:55], v[14:15]
	v_fma_f64 v[18:19], s[10:11], v[58:59], v[10:11]
	v_fmac_f64_e32 v[10:11], s[4:5], v[58:59]
	v_add3_u32 v20, 0, v20, v21
	ds_write_b128 v20, v[28:31]
	ds_write_b128 v20, v[24:27] offset:352
	ds_write_b128 v20, v[4:7] offset:704
	s_and_saveexec_b64 s[4:5], s[0:1]
	s_cbranch_execz .LBB0_17
; %bb.16:
	v_mul_lo_u16_e32 v20, 0x42, v45
	v_lshlrev_b32_e32 v21, 4, v44
	v_lshlrev_b32_e32 v20, 4, v20
	v_add3_u32 v20, 0, v21, v20
	ds_write_b128 v20, v[12:15]
	ds_write_b128 v20, v[16:19] offset:352
	ds_write_b128 v20, v[8:11] offset:704
.LBB0_17:
	s_or_b64 exec, exec, s[4:5]
	s_waitcnt lgkmcnt(0)
	s_barrier
	ds_read_b128 v[20:23], v41
	ds_read_b128 v[36:39], v41 offset:4224
	ds_read_b128 v[32:35], v41 offset:8448
	;; [unrolled: 1-line block ×4, first 2 shown]
	s_movk_i32 s0, 0x63
	v_cmp_gt_u32_e64 s[0:1], s0, v144
	s_and_saveexec_b64 s[4:5], s[0:1]
	s_cbranch_execz .LBB0_19
; %bb.18:
	ds_read_b128 v[4:7], v41 offset:2640
	ds_read_b128 v[12:15], v41 offset:6864
	;; [unrolled: 1-line block ×5, first 2 shown]
.LBB0_19:
	s_or_b64 exec, exec, s[4:5]
	s_movk_i32 s4, 0xf9
	v_mul_lo_u16_sdwa v43, v144, s4 dst_sel:DWORD dst_unused:UNUSED_PAD src0_sel:BYTE_0 src1_sel:DWORD
	v_lshrrev_b16_e32 v43, 14, v43
	v_mul_lo_u16_e32 v44, 0x42, v43
	v_sub_u16_e32 v82, v144, v44
	v_mov_b32_e32 v44, 6
	v_lshlrev_b32_sdwa v64, v44, v82 dst_sel:DWORD dst_unused:UNUSED_PAD src0_sel:DWORD src1_sel:BYTE_0
	global_load_dwordx4 v[44:47], v64, s[8:9] offset:880
	global_load_dwordx4 v[48:51], v64, s[8:9] offset:896
	;; [unrolled: 1-line block ×4, first 2 shown]
	s_mov_b32 s12, 0x134454ff
	s_mov_b32 s13, 0xbfee6f0e
	;; [unrolled: 1-line block ×9, first 2 shown]
	v_mul_u32_u24_e32 v43, 0x14a0, v43
	s_mov_b32 s11, 0x3fd3c6ef
	s_waitcnt lgkmcnt(0)
	s_barrier
	s_waitcnt vmcnt(3)
	v_mul_f64 v[64:65], v[38:39], v[46:47]
	s_waitcnt vmcnt(2)
	v_mul_f64 v[66:67], v[34:35], v[50:51]
	;; [unrolled: 2-line block ×4, first 2 shown]
	v_mul_f64 v[46:47], v[36:37], v[46:47]
	v_mul_f64 v[50:51], v[32:33], v[50:51]
	;; [unrolled: 1-line block ×4, first 2 shown]
	v_fmac_f64_e32 v[64:65], v[36:37], v[44:45]
	v_fmac_f64_e32 v[66:67], v[32:33], v[48:49]
	;; [unrolled: 1-line block ×4, first 2 shown]
	v_fma_f64 v[36:37], v[38:39], v[44:45], -v[46:47]
	v_fma_f64 v[32:33], v[34:35], v[48:49], -v[50:51]
	;; [unrolled: 1-line block ×4, first 2 shown]
	v_add_f64 v[24:25], v[20:21], v[64:65]
	v_add_f64 v[26:27], v[66:67], v[68:69]
	;; [unrolled: 1-line block ×3, first 2 shown]
	v_add_f64 v[46:47], v[32:33], -v[30:31]
	v_add_f64 v[28:29], v[64:65], -v[66:67]
	;; [unrolled: 1-line block ×4, first 2 shown]
	v_add_f64 v[54:55], v[22:23], v[36:37]
	v_add_f64 v[58:59], v[64:65], -v[70:71]
	v_add_f64 v[64:65], v[66:67], -v[68:69]
	v_add_f64 v[66:67], v[24:25], v[66:67]
	v_fma_f64 v[24:25], -0.5, v[26:27], v[20:21]
	v_fmac_f64_e32 v[20:21], -0.5, v[48:49]
	v_add_f64 v[44:45], v[36:37], -v[38:39]
	v_add_f64 v[56:57], v[32:33], v[30:31]
	v_add_f64 v[72:73], v[36:37], -v[32:33]
	v_add_f64 v[76:77], v[36:37], v[38:39]
	;; [unrolled: 2-line block ×3, first 2 shown]
	v_add_f64 v[34:35], v[54:55], v[32:33]
	v_fma_f64 v[32:33], s[18:19], v[46:47], v[20:21]
	v_fmac_f64_e32 v[20:21], s[12:13], v[46:47]
	v_add_f64 v[52:53], v[68:69], -v[70:71]
	v_add_f64 v[78:79], v[30:31], -v[38:39]
	v_fma_f64 v[26:27], -0.5, v[56:57], v[22:23]
	v_fmac_f64_e32 v[22:23], -0.5, v[76:77]
	v_fma_f64 v[28:29], s[12:13], v[44:45], v[24:25]
	v_fmac_f64_e32 v[24:25], s[18:19], v[44:45]
	v_fmac_f64_e32 v[32:33], s[4:5], v[44:45]
	;; [unrolled: 1-line block ×3, first 2 shown]
	v_mov_b32_e32 v44, 4
	v_add_f64 v[74:75], v[38:39], -v[30:31]
	v_add_f64 v[48:49], v[50:51], v[52:53]
	v_add_f64 v[52:53], v[36:37], v[78:79]
	;; [unrolled: 1-line block ×4, first 2 shown]
	v_fma_f64 v[30:31], s[18:19], v[58:59], v[26:27]
	v_fmac_f64_e32 v[26:27], s[12:13], v[58:59]
	v_fma_f64 v[34:35], s[12:13], v[64:65], v[22:23]
	v_fmac_f64_e32 v[22:23], s[18:19], v[64:65]
	v_lshlrev_b32_sdwa v44, v44, v82 dst_sel:DWORD dst_unused:UNUSED_PAD src0_sel:DWORD src1_sel:BYTE_0
	v_add_f64 v[50:51], v[72:73], v[74:75]
	v_add_f64 v[36:37], v[36:37], v[70:71]
	v_fmac_f64_e32 v[28:29], s[4:5], v[46:47]
	v_fmac_f64_e32 v[24:25], s[14:15], v[46:47]
	v_add_f64 v[38:39], v[54:55], v[38:39]
	v_fmac_f64_e32 v[30:31], s[14:15], v[64:65]
	v_fmac_f64_e32 v[26:27], s[4:5], v[64:65]
	;; [unrolled: 1-line block ×4, first 2 shown]
	v_add3_u32 v43, 0, v43, v44
	v_fmac_f64_e32 v[28:29], s[10:11], v[80:81]
	v_fmac_f64_e32 v[24:25], s[10:11], v[80:81]
	;; [unrolled: 1-line block ×8, first 2 shown]
	ds_write_b128 v43, v[36:39]
	ds_write_b128 v43, v[28:31] offset:1056
	ds_write_b128 v43, v[32:35] offset:2112
	;; [unrolled: 1-line block ×4, first 2 shown]
	s_and_saveexec_b64 s[20:21], s[0:1]
	s_cbranch_execz .LBB0_21
; %bb.20:
	s_mov_b32 s0, 0xf83f
	v_mul_u32_u24_sdwa v20, v40, s0 dst_sel:DWORD dst_unused:UNUSED_PAD src0_sel:WORD_0 src1_sel:DWORD
	v_lshrrev_b32_e32 v36, 22, v20
	v_mul_lo_u16_e32 v20, 0x42, v36
	v_sub_u16_e32 v37, v40, v20
	v_lshlrev_b32_e32 v38, 6, v37
	global_load_dwordx4 v[20:23], v38, s[8:9] offset:896
	global_load_dwordx4 v[24:27], v38, s[8:9] offset:880
	;; [unrolled: 1-line block ×4, first 2 shown]
	v_mul_lo_u16_e32 v36, 0x14a, v36
	v_lshlrev_b32_e32 v36, 4, v36
	v_lshlrev_b32_e32 v37, 4, v37
	v_add3_u32 v43, 0, v37, v36
	s_waitcnt vmcnt(3)
	v_mul_f64 v[36:37], v[16:17], v[22:23]
	s_waitcnt vmcnt(2)
	v_mul_f64 v[38:39], v[12:13], v[26:27]
	;; [unrolled: 2-line block ×4, first 2 shown]
	v_mul_f64 v[22:23], v[18:19], v[22:23]
	v_mul_f64 v[30:31], v[10:11], v[30:31]
	;; [unrolled: 1-line block ×4, first 2 shown]
	v_fma_f64 v[18:19], v[18:19], v[20:21], -v[36:37]
	v_fma_f64 v[14:15], v[14:15], v[24:25], -v[38:39]
	;; [unrolled: 1-line block ×4, first 2 shown]
	v_fmac_f64_e32 v[22:23], v[16:17], v[20:21]
	v_fmac_f64_e32 v[30:31], v[8:9], v[28:29]
	;; [unrolled: 1-line block ×4, first 2 shown]
	v_add_f64 v[0:1], v[18:19], -v[14:15]
	v_add_f64 v[2:3], v[36:37], -v[38:39]
	v_add_f64 v[8:9], v[14:15], v[38:39]
	v_add_f64 v[20:21], v[26:27], -v[34:35]
	v_add_f64 v[10:11], v[14:15], -v[18:19]
	v_add_f64 v[24:25], v[18:19], v[36:37]
	v_add_f64 v[28:29], v[6:7], v[14:15]
	v_add_f64 v[32:33], v[22:23], -v[26:27]
	v_add_f64 v[46:47], v[14:15], -v[38:39]
	v_add_f64 v[14:15], v[26:27], v[34:35]
	v_add_f64 v[50:51], v[26:27], -v[22:23]
	v_add_f64 v[54:55], v[22:23], v[30:31]
	v_add_f64 v[26:27], v[4:5], v[26:27]
	v_add_f64 v[16:17], v[22:23], -v[30:31]
	v_add_f64 v[12:13], v[38:39], -v[36:37]
	;; [unrolled: 1-line block ×3, first 2 shown]
	v_add_f64 v[56:57], v[0:1], v[2:3]
	v_fma_f64 v[2:3], -0.5, v[8:9], v[6:7]
	v_fma_f64 v[6:7], -0.5, v[24:25], v[6:7]
	v_add_f64 v[8:9], v[28:29], v[18:19]
	v_fma_f64 v[0:1], -0.5, v[14:15], v[4:5]
	v_fma_f64 v[4:5], -0.5, v[54:55], v[4:5]
	v_add_f64 v[18:19], v[26:27], v[22:23]
	v_add_f64 v[44:45], v[30:31], -v[34:35]
	v_add_f64 v[52:53], v[34:35], -v[30:31]
	v_add_f64 v[58:59], v[10:11], v[12:13]
	v_fma_f64 v[10:11], s[18:19], v[16:17], v[2:3]
	v_fmac_f64_e32 v[2:3], s[12:13], v[16:17]
	v_fma_f64 v[14:15], s[12:13], v[20:21], v[6:7]
	v_fmac_f64_e32 v[6:7], s[18:19], v[20:21]
	v_add_f64 v[22:23], v[8:9], v[36:37]
	v_fma_f64 v[8:9], s[12:13], v[48:49], v[0:1]
	v_fmac_f64_e32 v[0:1], s[18:19], v[48:49]
	v_fma_f64 v[12:13], s[18:19], v[46:47], v[4:5]
	v_fmac_f64_e32 v[4:5], s[12:13], v[46:47]
	v_add_f64 v[26:27], v[18:19], v[30:31]
	v_add_f64 v[24:25], v[32:33], v[44:45]
	;; [unrolled: 1-line block ×3, first 2 shown]
	v_fmac_f64_e32 v[10:11], s[4:5], v[20:21]
	v_fmac_f64_e32 v[2:3], s[14:15], v[20:21]
	;; [unrolled: 1-line block ×4, first 2 shown]
	v_add_f64 v[18:19], v[22:23], v[38:39]
	v_fmac_f64_e32 v[8:9], s[14:15], v[46:47]
	v_fmac_f64_e32 v[0:1], s[4:5], v[46:47]
	;; [unrolled: 1-line block ×4, first 2 shown]
	v_add_f64 v[16:17], v[26:27], v[34:35]
	v_fmac_f64_e32 v[10:11], s[10:11], v[56:57]
	v_fmac_f64_e32 v[2:3], s[10:11], v[56:57]
	;; [unrolled: 1-line block ×8, first 2 shown]
	ds_write_b128 v43, v[16:19]
	ds_write_b128 v43, v[4:7] offset:1056
	ds_write_b128 v43, v[0:3] offset:2112
	;; [unrolled: 1-line block ×4, first 2 shown]
.LBB0_21:
	s_or_b64 exec, exec, s[20:21]
	s_waitcnt lgkmcnt(0)
	s_barrier
	s_and_saveexec_b64 s[0:1], vcc
	s_cbranch_execz .LBB0_23
; %bb.22:
	v_mul_u32_u24_e32 v0, 3, v40
	v_lshlrev_b32_e32 v12, 4, v0
	v_mov_b32_e32 v13, 0
	v_lshl_add_u64 v[0:1], s[8:9], 0, v[12:13]
	s_movk_i32 s4, 0x1000
	v_mul_u32_u24_e32 v12, 3, v144
	s_mov_b64 s[0:1], 0x13f0
	v_add_co_u32_e32 v16, vcc, s4, v0
	v_lshlrev_b32_e32 v12, 4, v12
	v_lshl_add_u64 v[14:15], v[0:1], 0, s[0:1]
	v_addc_co_u32_e32 v17, vcc, 0, v1, vcc
	v_lshl_add_u64 v[12:13], s[8:9], 0, v[12:13]
	global_load_dwordx4 v[0:3], v[14:15], off offset:16
	global_load_dwordx4 v[4:7], v[16:17], off offset:1008
	global_load_dwordx4 v[8:11], v[14:15], off offset:32
	v_lshl_add_u64 v[24:25], v[12:13], 0, s[0:1]
	v_add_co_u32_e32 v26, vcc, s4, v12
	v_mul_lo_u32 v43, s3, v62
	s_nop 0
	v_addc_co_u32_e32 v27, vcc, 0, v13, vcc
	global_load_dwordx4 v[12:15], v[24:25], off offset:16
	global_load_dwordx4 v[16:19], v[26:27], off offset:1008
	;; [unrolled: 1-line block ×3, first 2 shown]
	ds_read_b128 v[24:27], v41 offset:13200
	ds_read_b128 v[28:31], v41 offset:2640
	ds_read_b128 v[32:35], v41
	ds_read_b128 v[36:39], v41 offset:7920
	ds_read_b128 v[44:47], v41 offset:10560
	;; [unrolled: 1-line block ×3, first 2 shown]
	ds_read_b128 v[52:55], v42
	ds_read_b128 v[56:59], v41 offset:15840
	v_mul_lo_u32 v64, s2, v63
	v_mad_u64_u32 v[62:63], s[0:1], s2, v62, 0
	v_add3_u32 v63, v63, v64, v43
	s_movk_i32 s2, 0x3de
	s_waitcnt vmcnt(5) lgkmcnt(7)
	v_mul_f64 v[42:43], v[2:3], v[24:25]
	s_waitcnt vmcnt(4) lgkmcnt(4)
	v_mul_f64 v[64:65], v[6:7], v[38:39]
	;; [unrolled: 2-line block ×3, first 2 shown]
	v_mul_f64 v[24:25], v[0:1], v[24:25]
	v_mul_f64 v[6:7], v[36:37], v[6:7]
	v_mul_f64 v[10:11], v[48:49], v[10:11]
	v_fma_f64 v[0:1], v[0:1], v[26:27], -v[42:43]
	v_fmac_f64_e32 v[64:65], v[4:5], v[36:37]
	v_fmac_f64_e32 v[66:67], v[8:9], v[48:49]
	;; [unrolled: 1-line block ×3, first 2 shown]
	v_fma_f64 v[4:5], v[4:5], v[38:39], -v[6:7]
	v_fma_f64 v[2:3], v[8:9], v[50:51], -v[10:11]
	s_waitcnt vmcnt(2)
	v_mul_f64 v[6:7], v[14:15], v[44:45]
	s_waitcnt vmcnt(1) lgkmcnt(1)
	v_mul_f64 v[36:37], v[18:19], v[54:55]
	s_waitcnt vmcnt(0) lgkmcnt(0)
	v_mul_f64 v[8:9], v[22:23], v[58:59]
	v_mul_f64 v[10:11], v[12:13], v[44:45]
	;; [unrolled: 1-line block ×4, first 2 shown]
	v_add_f64 v[26:27], v[30:31], -v[0:1]
	v_add_f64 v[38:39], v[64:65], -v[66:67]
	;; [unrolled: 1-line block ×4, first 2 shown]
	v_fma_f64 v[6:7], v[12:13], v[46:47], -v[6:7]
	v_fmac_f64_e32 v[36:37], v[16:17], v[52:53]
	v_fmac_f64_e32 v[8:9], v[20:21], v[56:57]
	v_fmac_f64_e32 v[10:11], v[46:47], v[14:15]
	v_fma_f64 v[16:17], v[16:17], v[54:55], -v[18:19]
	v_fma_f64 v[12:13], v[20:21], v[58:59], -v[22:23]
	v_add_f64 v[2:3], v[26:27], -v[38:39]
	v_fma_f64 v[18:19], v[30:31], 2.0, -v[26:27]
	v_fma_f64 v[14:15], v[4:5], 2.0, -v[42:43]
	;; [unrolled: 1-line block ×4, first 2 shown]
	v_add_f64 v[28:29], v[34:35], -v[6:7]
	v_add_f64 v[38:39], v[36:37], -v[8:9]
	v_add_f64 v[0:1], v[24:25], v[42:43]
	v_add_f64 v[42:43], v[32:33], -v[10:11]
	v_add_f64 v[10:11], v[18:19], -v[14:15]
	v_add_f64 v[14:15], v[28:29], -v[38:39]
	v_add_f64 v[30:31], v[16:17], -v[12:13]
	v_fma_f64 v[4:5], v[24:25], 2.0, -v[0:1]
	v_add_f64 v[8:9], v[20:21], -v[22:23]
	v_fma_f64 v[24:25], v[34:35], 2.0, -v[28:29]
	v_fma_f64 v[22:23], v[28:29], 2.0, -v[14:15]
	;; [unrolled: 1-line block ×3, first 2 shown]
	v_mad_u64_u32 v[32:33], s[0:1], s16, v144, 0
	v_fma_f64 v[6:7], v[26:27], 2.0, -v[2:3]
	v_fma_f64 v[26:27], v[16:17], 2.0, -v[30:31]
	v_mov_b32_e32 v34, v33
	v_add_f64 v[26:27], v[24:25], -v[26:27]
	v_mad_u64_u32 v[34:35], s[0:1], s17, v144, v[34:35]
	v_add_f64 v[12:13], v[42:43], v[30:31]
	v_fma_f64 v[30:31], v[24:25], 2.0, -v[26:27]
	v_fma_f64 v[24:25], v[36:37], 2.0, -v[38:39]
	v_mov_b32_e32 v33, v34
	v_lshl_add_u64 v[34:35], v[62:63], 4, s[6:7]
	v_add_f64 v[24:25], v[28:29], -v[24:25]
	v_lshl_add_u64 v[34:35], v[60:61], 4, v[34:35]
	v_fma_f64 v[28:29], v[28:29], 2.0, -v[24:25]
	v_lshl_add_u64 v[32:33], v[32:33], 4, v[34:35]
	global_store_dwordx4 v[32:33], v[28:31], off
	v_fma_f64 v[16:17], v[20:21], 2.0, -v[8:9]
	v_fma_f64 v[20:21], v[42:43], 2.0, -v[12:13]
	v_add_u32_e32 v31, 0x14a, v144
	v_mad_u64_u32 v[28:29], s[0:1], s16, v31, 0
	v_mov_b32_e32 v30, v29
	v_mad_u64_u32 v[30:31], s[0:1], s17, v31, v[30:31]
	v_mov_b32_e32 v29, v30
	v_lshl_add_u64 v[28:29], v[28:29], 4, v[34:35]
	global_store_dwordx4 v[28:29], v[20:23], off
	v_fma_f64 v[18:19], v[18:19], 2.0, -v[10:11]
	s_nop 0
	v_add_u32_e32 v23, 0x294, v144
	v_mad_u64_u32 v[20:21], s[0:1], s16, v23, 0
	v_mov_b32_e32 v22, v21
	v_mad_u64_u32 v[22:23], s[0:1], s17, v23, v[22:23]
	v_mov_b32_e32 v21, v22
	v_lshl_add_u64 v[20:21], v[20:21], 4, v[34:35]
	v_add_u32_e32 v23, 0x3de, v144
	global_store_dwordx4 v[20:21], v[24:27], off
	v_mad_u64_u32 v[20:21], s[0:1], s16, v23, 0
	v_mov_b32_e32 v22, v21
	v_mad_u64_u32 v[22:23], s[0:1], s17, v23, v[22:23]
	v_mov_b32_e32 v21, v22
	v_lshl_add_u64 v[20:21], v[20:21], 4, v[34:35]
	s_mov_b32 s0, 0x634c0635
	global_store_dwordx4 v[20:21], v[12:15], off
	s_nop 1
	v_mul_hi_u32 v12, v40, s0
	v_lshrrev_b32_e32 v12, 7, v12
	v_mad_u32_u24 v20, v12, s2, v40
	v_mad_u64_u32 v[12:13], s[0:1], s16, v20, 0
	v_mov_b32_e32 v14, v13
	v_mad_u64_u32 v[14:15], s[0:1], s17, v20, v[14:15]
	v_mov_b32_e32 v13, v14
	v_lshl_add_u64 v[12:13], v[12:13], 4, v[34:35]
	v_add_u32_e32 v15, 0x14a, v20
	global_store_dwordx4 v[12:13], v[16:19], off
	v_mad_u64_u32 v[12:13], s[0:1], s16, v15, 0
	v_mov_b32_e32 v14, v13
	v_mad_u64_u32 v[14:15], s[0:1], s17, v15, v[14:15]
	v_mov_b32_e32 v13, v14
	v_lshl_add_u64 v[12:13], v[12:13], 4, v[34:35]
	global_store_dwordx4 v[12:13], v[4:7], off
	s_nop 1
	v_add_u32_e32 v7, 0x294, v20
	v_mad_u64_u32 v[4:5], s[0:1], s16, v7, 0
	v_mov_b32_e32 v6, v5
	v_mad_u64_u32 v[6:7], s[0:1], s17, v7, v[6:7]
	v_mov_b32_e32 v5, v6
	v_lshl_add_u64 v[4:5], v[4:5], 4, v[34:35]
	v_add_u32_e32 v7, 0x3de, v20
	global_store_dwordx4 v[4:5], v[8:11], off
	v_mad_u64_u32 v[4:5], s[0:1], s16, v7, 0
	v_mov_b32_e32 v6, v5
	v_mad_u64_u32 v[6:7], s[0:1], s17, v7, v[6:7]
	v_mov_b32_e32 v5, v6
	v_lshl_add_u64 v[4:5], v[4:5], 4, v[34:35]
	global_store_dwordx4 v[4:5], v[0:3], off
.LBB0_23:
	s_endpgm
	.section	.rodata,"a",@progbits
	.p2align	6, 0x0
	.amdhsa_kernel fft_rtc_back_len1320_factors_11_2_3_5_4_wgs_165_tpt_165_dp_op_CI_CI_sbrr_dirReg
		.amdhsa_group_segment_fixed_size 0
		.amdhsa_private_segment_fixed_size 0
		.amdhsa_kernarg_size 104
		.amdhsa_user_sgpr_count 2
		.amdhsa_user_sgpr_dispatch_ptr 0
		.amdhsa_user_sgpr_queue_ptr 0
		.amdhsa_user_sgpr_kernarg_segment_ptr 1
		.amdhsa_user_sgpr_dispatch_id 0
		.amdhsa_user_sgpr_kernarg_preload_length 0
		.amdhsa_user_sgpr_kernarg_preload_offset 0
		.amdhsa_user_sgpr_private_segment_size 0
		.amdhsa_uses_dynamic_stack 0
		.amdhsa_enable_private_segment 0
		.amdhsa_system_sgpr_workgroup_id_x 1
		.amdhsa_system_sgpr_workgroup_id_y 0
		.amdhsa_system_sgpr_workgroup_id_z 0
		.amdhsa_system_sgpr_workgroup_info 0
		.amdhsa_system_vgpr_workitem_id 0
		.amdhsa_next_free_vgpr 172
		.amdhsa_next_free_sgpr 42
		.amdhsa_accum_offset 172
		.amdhsa_reserve_vcc 1
		.amdhsa_float_round_mode_32 0
		.amdhsa_float_round_mode_16_64 0
		.amdhsa_float_denorm_mode_32 3
		.amdhsa_float_denorm_mode_16_64 3
		.amdhsa_dx10_clamp 1
		.amdhsa_ieee_mode 1
		.amdhsa_fp16_overflow 0
		.amdhsa_tg_split 0
		.amdhsa_exception_fp_ieee_invalid_op 0
		.amdhsa_exception_fp_denorm_src 0
		.amdhsa_exception_fp_ieee_div_zero 0
		.amdhsa_exception_fp_ieee_overflow 0
		.amdhsa_exception_fp_ieee_underflow 0
		.amdhsa_exception_fp_ieee_inexact 0
		.amdhsa_exception_int_div_zero 0
	.end_amdhsa_kernel
	.text
.Lfunc_end0:
	.size	fft_rtc_back_len1320_factors_11_2_3_5_4_wgs_165_tpt_165_dp_op_CI_CI_sbrr_dirReg, .Lfunc_end0-fft_rtc_back_len1320_factors_11_2_3_5_4_wgs_165_tpt_165_dp_op_CI_CI_sbrr_dirReg
                                        ; -- End function
	.section	.AMDGPU.csdata,"",@progbits
; Kernel info:
; codeLenInByte = 8792
; NumSgprs: 48
; NumVgprs: 172
; NumAgprs: 0
; TotalNumVgprs: 172
; ScratchSize: 0
; MemoryBound: 1
; FloatMode: 240
; IeeeMode: 1
; LDSByteSize: 0 bytes/workgroup (compile time only)
; SGPRBlocks: 5
; VGPRBlocks: 21
; NumSGPRsForWavesPerEU: 48
; NumVGPRsForWavesPerEU: 172
; AccumOffset: 172
; Occupancy: 2
; WaveLimiterHint : 1
; COMPUTE_PGM_RSRC2:SCRATCH_EN: 0
; COMPUTE_PGM_RSRC2:USER_SGPR: 2
; COMPUTE_PGM_RSRC2:TRAP_HANDLER: 0
; COMPUTE_PGM_RSRC2:TGID_X_EN: 1
; COMPUTE_PGM_RSRC2:TGID_Y_EN: 0
; COMPUTE_PGM_RSRC2:TGID_Z_EN: 0
; COMPUTE_PGM_RSRC2:TIDIG_COMP_CNT: 0
; COMPUTE_PGM_RSRC3_GFX90A:ACCUM_OFFSET: 42
; COMPUTE_PGM_RSRC3_GFX90A:TG_SPLIT: 0
	.text
	.p2alignl 6, 3212836864
	.fill 256, 4, 3212836864
	.type	__hip_cuid_926b8e9af6923ab4,@object ; @__hip_cuid_926b8e9af6923ab4
	.section	.bss,"aw",@nobits
	.globl	__hip_cuid_926b8e9af6923ab4
__hip_cuid_926b8e9af6923ab4:
	.byte	0                               ; 0x0
	.size	__hip_cuid_926b8e9af6923ab4, 1

	.ident	"AMD clang version 19.0.0git (https://github.com/RadeonOpenCompute/llvm-project roc-6.4.0 25133 c7fe45cf4b819c5991fe208aaa96edf142730f1d)"
	.section	".note.GNU-stack","",@progbits
	.addrsig
	.addrsig_sym __hip_cuid_926b8e9af6923ab4
	.amdgpu_metadata
---
amdhsa.kernels:
  - .agpr_count:     0
    .args:
      - .actual_access:  read_only
        .address_space:  global
        .offset:         0
        .size:           8
        .value_kind:     global_buffer
      - .offset:         8
        .size:           8
        .value_kind:     by_value
      - .actual_access:  read_only
        .address_space:  global
        .offset:         16
        .size:           8
        .value_kind:     global_buffer
      - .actual_access:  read_only
        .address_space:  global
        .offset:         24
        .size:           8
        .value_kind:     global_buffer
      - .actual_access:  read_only
        .address_space:  global
        .offset:         32
        .size:           8
        .value_kind:     global_buffer
      - .offset:         40
        .size:           8
        .value_kind:     by_value
      - .actual_access:  read_only
        .address_space:  global
        .offset:         48
        .size:           8
        .value_kind:     global_buffer
      - .actual_access:  read_only
        .address_space:  global
        .offset:         56
        .size:           8
        .value_kind:     global_buffer
      - .offset:         64
        .size:           4
        .value_kind:     by_value
      - .actual_access:  read_only
        .address_space:  global
        .offset:         72
        .size:           8
        .value_kind:     global_buffer
      - .actual_access:  read_only
        .address_space:  global
        .offset:         80
        .size:           8
        .value_kind:     global_buffer
      - .actual_access:  read_only
        .address_space:  global
        .offset:         88
        .size:           8
        .value_kind:     global_buffer
      - .actual_access:  write_only
        .address_space:  global
        .offset:         96
        .size:           8
        .value_kind:     global_buffer
    .group_segment_fixed_size: 0
    .kernarg_segment_align: 8
    .kernarg_segment_size: 104
    .language:       OpenCL C
    .language_version:
      - 2
      - 0
    .max_flat_workgroup_size: 165
    .name:           fft_rtc_back_len1320_factors_11_2_3_5_4_wgs_165_tpt_165_dp_op_CI_CI_sbrr_dirReg
    .private_segment_fixed_size: 0
    .sgpr_count:     48
    .sgpr_spill_count: 0
    .symbol:         fft_rtc_back_len1320_factors_11_2_3_5_4_wgs_165_tpt_165_dp_op_CI_CI_sbrr_dirReg.kd
    .uniform_work_group_size: 1
    .uses_dynamic_stack: false
    .vgpr_count:     172
    .vgpr_spill_count: 0
    .wavefront_size: 64
amdhsa.target:   amdgcn-amd-amdhsa--gfx950
amdhsa.version:
  - 1
  - 2
...

	.end_amdgpu_metadata
